;; amdgpu-corpus repo=ROCm/rocFFT kind=compiled arch=gfx1201 opt=O3
	.text
	.amdgcn_target "amdgcn-amd-amdhsa--gfx1201"
	.amdhsa_code_object_version 6
	.protected	fft_rtc_back_len66_factors_6_11_wgs_253_tpt_11_dp_ip_CI_unitstride_sbrr_dirReg ; -- Begin function fft_rtc_back_len66_factors_6_11_wgs_253_tpt_11_dp_ip_CI_unitstride_sbrr_dirReg
	.globl	fft_rtc_back_len66_factors_6_11_wgs_253_tpt_11_dp_ip_CI_unitstride_sbrr_dirReg
	.p2align	8
	.type	fft_rtc_back_len66_factors_6_11_wgs_253_tpt_11_dp_ip_CI_unitstride_sbrr_dirReg,@function
fft_rtc_back_len66_factors_6_11_wgs_253_tpt_11_dp_ip_CI_unitstride_sbrr_dirReg: ; @fft_rtc_back_len66_factors_6_11_wgs_253_tpt_11_dp_ip_CI_unitstride_sbrr_dirReg
; %bb.0:
	s_load_b128 s[4:7], s[0:1], 0x0
	v_mul_u32_u24_e32 v1, 0x1746, v0
	s_clause 0x1
	s_load_b64 s[8:9], s[0:1], 0x50
	s_load_b64 s[10:11], s[0:1], 0x18
	v_mov_b32_e32 v3, 0
	v_lshrrev_b32_e32 v1, 16, v1
	s_delay_alu instid0(VALU_DEP_1) | instskip(SKIP_1) | instid1(VALU_DEP_4)
	v_mad_co_u64_u32 v[24:25], null, ttmp9, 23, v[1:2]
	v_mov_b32_e32 v1, 0
	v_dual_mov_b32 v2, 0 :: v_dual_mov_b32 v25, v3
	s_delay_alu instid0(VALU_DEP_1) | instskip(SKIP_2) | instid1(VALU_DEP_1)
	v_dual_mov_b32 v7, v24 :: v_dual_mov_b32 v8, v25
	s_wait_kmcnt 0x0
	v_cmp_lt_u64_e64 s2, s[6:7], 2
	s_and_b32 vcc_lo, exec_lo, s2
	s_cbranch_vccnz .LBB0_8
; %bb.1:
	s_load_b64 s[2:3], s[0:1], 0x10
	v_mov_b32_e32 v1, 0
	v_dual_mov_b32 v2, 0 :: v_dual_mov_b32 v5, v24
	v_mov_b32_e32 v6, v25
	s_add_nc_u64 s[12:13], s[10:11], 8
	s_mov_b64 s[14:15], 1
	s_wait_kmcnt 0x0
	s_add_nc_u64 s[16:17], s[2:3], 8
	s_mov_b32 s3, 0
.LBB0_2:                                ; =>This Inner Loop Header: Depth=1
	s_load_b64 s[18:19], s[16:17], 0x0
                                        ; implicit-def: $vgpr7_vgpr8
	s_mov_b32 s2, exec_lo
	s_wait_kmcnt 0x0
	v_or_b32_e32 v4, s19, v6
	s_delay_alu instid0(VALU_DEP_1)
	v_cmpx_ne_u64_e32 0, v[3:4]
	s_wait_alu 0xfffe
	s_xor_b32 s20, exec_lo, s2
	s_cbranch_execz .LBB0_4
; %bb.3:                                ;   in Loop: Header=BB0_2 Depth=1
	s_cvt_f32_u32 s2, s18
	s_cvt_f32_u32 s21, s19
	s_sub_nc_u64 s[24:25], 0, s[18:19]
	s_wait_alu 0xfffe
	s_delay_alu instid0(SALU_CYCLE_1) | instskip(SKIP_1) | instid1(SALU_CYCLE_2)
	s_fmamk_f32 s2, s21, 0x4f800000, s2
	s_wait_alu 0xfffe
	v_s_rcp_f32 s2, s2
	s_delay_alu instid0(TRANS32_DEP_1) | instskip(SKIP_1) | instid1(SALU_CYCLE_2)
	s_mul_f32 s2, s2, 0x5f7ffffc
	s_wait_alu 0xfffe
	s_mul_f32 s21, s2, 0x2f800000
	s_wait_alu 0xfffe
	s_delay_alu instid0(SALU_CYCLE_2) | instskip(SKIP_1) | instid1(SALU_CYCLE_2)
	s_trunc_f32 s21, s21
	s_wait_alu 0xfffe
	s_fmamk_f32 s2, s21, 0xcf800000, s2
	s_cvt_u32_f32 s23, s21
	s_wait_alu 0xfffe
	s_delay_alu instid0(SALU_CYCLE_1) | instskip(SKIP_1) | instid1(SALU_CYCLE_2)
	s_cvt_u32_f32 s22, s2
	s_wait_alu 0xfffe
	s_mul_u64 s[26:27], s[24:25], s[22:23]
	s_wait_alu 0xfffe
	s_mul_hi_u32 s29, s22, s27
	s_mul_i32 s28, s22, s27
	s_mul_hi_u32 s2, s22, s26
	s_mul_i32 s30, s23, s26
	s_wait_alu 0xfffe
	s_add_nc_u64 s[28:29], s[2:3], s[28:29]
	s_mul_hi_u32 s21, s23, s26
	s_mul_hi_u32 s31, s23, s27
	s_add_co_u32 s2, s28, s30
	s_wait_alu 0xfffe
	s_add_co_ci_u32 s2, s29, s21
	s_mul_i32 s26, s23, s27
	s_add_co_ci_u32 s27, s31, 0
	s_wait_alu 0xfffe
	s_add_nc_u64 s[26:27], s[2:3], s[26:27]
	s_wait_alu 0xfffe
	v_add_co_u32 v4, s2, s22, s26
	s_delay_alu instid0(VALU_DEP_1) | instskip(SKIP_1) | instid1(VALU_DEP_1)
	s_cmp_lg_u32 s2, 0
	s_add_co_ci_u32 s23, s23, s27
	v_readfirstlane_b32 s22, v4
	s_wait_alu 0xfffe
	s_delay_alu instid0(VALU_DEP_1)
	s_mul_u64 s[24:25], s[24:25], s[22:23]
	s_wait_alu 0xfffe
	s_mul_hi_u32 s27, s22, s25
	s_mul_i32 s26, s22, s25
	s_mul_hi_u32 s2, s22, s24
	s_mul_i32 s28, s23, s24
	s_wait_alu 0xfffe
	s_add_nc_u64 s[26:27], s[2:3], s[26:27]
	s_mul_hi_u32 s21, s23, s24
	s_mul_hi_u32 s22, s23, s25
	s_wait_alu 0xfffe
	s_add_co_u32 s2, s26, s28
	s_add_co_ci_u32 s2, s27, s21
	s_mul_i32 s24, s23, s25
	s_add_co_ci_u32 s25, s22, 0
	s_wait_alu 0xfffe
	s_add_nc_u64 s[24:25], s[2:3], s[24:25]
	s_wait_alu 0xfffe
	v_add_co_u32 v4, s2, v4, s24
	s_delay_alu instid0(VALU_DEP_1) | instskip(SKIP_1) | instid1(VALU_DEP_1)
	s_cmp_lg_u32 s2, 0
	s_add_co_ci_u32 s2, s23, s25
	v_mul_hi_u32 v13, v5, v4
	s_wait_alu 0xfffe
	v_mad_co_u64_u32 v[7:8], null, v5, s2, 0
	v_mad_co_u64_u32 v[9:10], null, v6, v4, 0
	;; [unrolled: 1-line block ×3, first 2 shown]
	s_delay_alu instid0(VALU_DEP_3) | instskip(SKIP_1) | instid1(VALU_DEP_4)
	v_add_co_u32 v4, vcc_lo, v13, v7
	s_wait_alu 0xfffd
	v_add_co_ci_u32_e32 v7, vcc_lo, 0, v8, vcc_lo
	s_delay_alu instid0(VALU_DEP_2) | instskip(SKIP_1) | instid1(VALU_DEP_2)
	v_add_co_u32 v4, vcc_lo, v4, v9
	s_wait_alu 0xfffd
	v_add_co_ci_u32_e32 v4, vcc_lo, v7, v10, vcc_lo
	s_wait_alu 0xfffd
	v_add_co_ci_u32_e32 v7, vcc_lo, 0, v12, vcc_lo
	s_delay_alu instid0(VALU_DEP_2) | instskip(SKIP_1) | instid1(VALU_DEP_2)
	v_add_co_u32 v4, vcc_lo, v4, v11
	s_wait_alu 0xfffd
	v_add_co_ci_u32_e32 v9, vcc_lo, 0, v7, vcc_lo
	s_delay_alu instid0(VALU_DEP_2) | instskip(SKIP_1) | instid1(VALU_DEP_3)
	v_mul_lo_u32 v10, s19, v4
	v_mad_co_u64_u32 v[7:8], null, s18, v4, 0
	v_mul_lo_u32 v11, s18, v9
	s_delay_alu instid0(VALU_DEP_2) | instskip(NEXT) | instid1(VALU_DEP_2)
	v_sub_co_u32 v7, vcc_lo, v5, v7
	v_add3_u32 v8, v8, v11, v10
	s_delay_alu instid0(VALU_DEP_1) | instskip(SKIP_1) | instid1(VALU_DEP_1)
	v_sub_nc_u32_e32 v10, v6, v8
	s_wait_alu 0xfffd
	v_subrev_co_ci_u32_e64 v10, s2, s19, v10, vcc_lo
	v_add_co_u32 v11, s2, v4, 2
	s_wait_alu 0xf1ff
	v_add_co_ci_u32_e64 v12, s2, 0, v9, s2
	v_sub_co_u32 v13, s2, v7, s18
	v_sub_co_ci_u32_e32 v8, vcc_lo, v6, v8, vcc_lo
	s_wait_alu 0xf1ff
	v_subrev_co_ci_u32_e64 v10, s2, 0, v10, s2
	s_delay_alu instid0(VALU_DEP_3) | instskip(NEXT) | instid1(VALU_DEP_3)
	v_cmp_le_u32_e32 vcc_lo, s18, v13
	v_cmp_eq_u32_e64 s2, s19, v8
	s_wait_alu 0xfffd
	v_cndmask_b32_e64 v13, 0, -1, vcc_lo
	v_cmp_le_u32_e32 vcc_lo, s19, v10
	s_wait_alu 0xfffd
	v_cndmask_b32_e64 v14, 0, -1, vcc_lo
	v_cmp_le_u32_e32 vcc_lo, s18, v7
	;; [unrolled: 3-line block ×3, first 2 shown]
	s_wait_alu 0xfffd
	v_cndmask_b32_e64 v15, 0, -1, vcc_lo
	v_cmp_eq_u32_e32 vcc_lo, s19, v10
	s_wait_alu 0xf1ff
	s_delay_alu instid0(VALU_DEP_2)
	v_cndmask_b32_e64 v7, v15, v7, s2
	s_wait_alu 0xfffd
	v_cndmask_b32_e32 v10, v14, v13, vcc_lo
	v_add_co_u32 v13, vcc_lo, v4, 1
	s_wait_alu 0xfffd
	v_add_co_ci_u32_e32 v14, vcc_lo, 0, v9, vcc_lo
	s_delay_alu instid0(VALU_DEP_3) | instskip(SKIP_2) | instid1(VALU_DEP_3)
	v_cmp_ne_u32_e32 vcc_lo, 0, v10
	s_wait_alu 0xfffd
	v_cndmask_b32_e32 v10, v13, v11, vcc_lo
	v_cndmask_b32_e32 v8, v14, v12, vcc_lo
	v_cmp_ne_u32_e32 vcc_lo, 0, v7
	s_wait_alu 0xfffd
	s_delay_alu instid0(VALU_DEP_2)
	v_dual_cndmask_b32 v7, v4, v10 :: v_dual_cndmask_b32 v8, v9, v8
.LBB0_4:                                ;   in Loop: Header=BB0_2 Depth=1
	s_wait_alu 0xfffe
	s_and_not1_saveexec_b32 s2, s20
	s_cbranch_execz .LBB0_6
; %bb.5:                                ;   in Loop: Header=BB0_2 Depth=1
	v_cvt_f32_u32_e32 v4, s18
	s_sub_co_i32 s20, 0, s18
	s_delay_alu instid0(VALU_DEP_1) | instskip(NEXT) | instid1(TRANS32_DEP_1)
	v_rcp_iflag_f32_e32 v4, v4
	v_mul_f32_e32 v4, 0x4f7ffffe, v4
	s_delay_alu instid0(VALU_DEP_1) | instskip(SKIP_1) | instid1(VALU_DEP_1)
	v_cvt_u32_f32_e32 v4, v4
	s_wait_alu 0xfffe
	v_mul_lo_u32 v7, s20, v4
	s_delay_alu instid0(VALU_DEP_1) | instskip(NEXT) | instid1(VALU_DEP_1)
	v_mul_hi_u32 v7, v4, v7
	v_add_nc_u32_e32 v4, v4, v7
	s_delay_alu instid0(VALU_DEP_1) | instskip(NEXT) | instid1(VALU_DEP_1)
	v_mul_hi_u32 v4, v5, v4
	v_mul_lo_u32 v7, v4, s18
	v_add_nc_u32_e32 v8, 1, v4
	s_delay_alu instid0(VALU_DEP_2) | instskip(NEXT) | instid1(VALU_DEP_1)
	v_sub_nc_u32_e32 v7, v5, v7
	v_subrev_nc_u32_e32 v9, s18, v7
	v_cmp_le_u32_e32 vcc_lo, s18, v7
	s_wait_alu 0xfffd
	s_delay_alu instid0(VALU_DEP_2) | instskip(NEXT) | instid1(VALU_DEP_1)
	v_dual_cndmask_b32 v7, v7, v9 :: v_dual_cndmask_b32 v4, v4, v8
	v_cmp_le_u32_e32 vcc_lo, s18, v7
	s_delay_alu instid0(VALU_DEP_2) | instskip(SKIP_1) | instid1(VALU_DEP_1)
	v_add_nc_u32_e32 v8, 1, v4
	s_wait_alu 0xfffd
	v_dual_cndmask_b32 v7, v4, v8 :: v_dual_mov_b32 v8, v3
.LBB0_6:                                ;   in Loop: Header=BB0_2 Depth=1
	s_wait_alu 0xfffe
	s_or_b32 exec_lo, exec_lo, s2
	s_load_b64 s[20:21], s[12:13], 0x0
	s_delay_alu instid0(VALU_DEP_1)
	v_mul_lo_u32 v4, v8, s18
	v_mul_lo_u32 v11, v7, s19
	v_mad_co_u64_u32 v[9:10], null, v7, s18, 0
	s_add_nc_u64 s[14:15], s[14:15], 1
	s_add_nc_u64 s[12:13], s[12:13], 8
	s_wait_alu 0xfffe
	v_cmp_ge_u64_e64 s2, s[14:15], s[6:7]
	s_add_nc_u64 s[16:17], s[16:17], 8
	s_delay_alu instid0(VALU_DEP_2) | instskip(NEXT) | instid1(VALU_DEP_3)
	v_add3_u32 v4, v10, v11, v4
	v_sub_co_u32 v5, vcc_lo, v5, v9
	s_wait_alu 0xfffd
	s_delay_alu instid0(VALU_DEP_2) | instskip(SKIP_3) | instid1(VALU_DEP_2)
	v_sub_co_ci_u32_e32 v4, vcc_lo, v6, v4, vcc_lo
	s_and_b32 vcc_lo, exec_lo, s2
	s_wait_kmcnt 0x0
	v_mul_lo_u32 v6, s21, v5
	v_mul_lo_u32 v4, s20, v4
	v_mad_co_u64_u32 v[1:2], null, s20, v5, v[1:2]
	s_delay_alu instid0(VALU_DEP_1)
	v_add3_u32 v2, v6, v2, v4
	s_wait_alu 0xfffe
	s_cbranch_vccnz .LBB0_8
; %bb.7:                                ;   in Loop: Header=BB0_2 Depth=1
	v_dual_mov_b32 v5, v7 :: v_dual_mov_b32 v6, v8
	s_branch .LBB0_2
.LBB0_8:
	s_lshl_b64 s[2:3], s[6:7], 3
	v_mul_hi_u32 v5, 0x1745d175, v0
	s_wait_alu 0xfffe
	s_add_nc_u64 s[2:3], s[10:11], s[2:3]
                                        ; implicit-def: $vgpr14_vgpr15
                                        ; implicit-def: $vgpr22_vgpr23
                                        ; implicit-def: $vgpr18_vgpr19
                                        ; implicit-def: $vgpr10_vgpr11
	s_load_b64 s[2:3], s[2:3], 0x0
	s_load_b64 s[0:1], s[0:1], 0x20
	s_wait_kmcnt 0x0
	v_mul_lo_u32 v3, s2, v8
	v_mul_lo_u32 v4, s3, v7
	v_mad_co_u64_u32 v[1:2], null, s2, v7, v[1:2]
	v_cmp_gt_u64_e32 vcc_lo, s[0:1], v[7:8]
                                        ; implicit-def: $vgpr6_vgpr7
	s_delay_alu instid0(VALU_DEP_2) | instskip(SKIP_1) | instid1(VALU_DEP_2)
	v_add3_u32 v2, v4, v2, v3
	v_mul_u32_u24_e32 v3, 11, v5
	v_lshlrev_b64_e32 v[52:53], 4, v[1:2]
	s_delay_alu instid0(VALU_DEP_2)
	v_sub_nc_u32_e32 v54, v0, v3
                                        ; implicit-def: $vgpr2_vgpr3
	s_and_saveexec_b32 s1, vcc_lo
; %bb.9:
	v_mov_b32_e32 v55, 0
	s_delay_alu instid0(VALU_DEP_3) | instskip(SKIP_2) | instid1(VALU_DEP_3)
	v_add_co_u32 v2, s0, s8, v52
	s_wait_alu 0xf1ff
	v_add_co_ci_u32_e64 v3, s0, s9, v53, s0
	v_lshlrev_b64_e32 v[0:1], 4, v[54:55]
	s_delay_alu instid0(VALU_DEP_1) | instskip(SKIP_1) | instid1(VALU_DEP_2)
	v_add_co_u32 v12, s0, v2, v0
	s_wait_alu 0xf1ff
	v_add_co_ci_u32_e64 v13, s0, v3, v1, s0
	s_clause 0x5
	global_load_b128 v[0:3], v[12:13], off
	global_load_b128 v[8:11], v[12:13], off offset:176
	global_load_b128 v[16:19], v[12:13], off offset:352
	;; [unrolled: 1-line block ×5, first 2 shown]
; %bb.10:
	s_wait_alu 0xfffe
	s_or_b32 exec_lo, exec_lo, s1
	s_wait_loadcnt 0x0
	v_add_f64_e32 v[25:26], v[14:15], v[22:23]
	v_add_f64_e32 v[27:28], v[12:13], v[20:21]
	v_add_f64_e64 v[29:30], v[20:21], -v[12:13]
	v_add_f64_e64 v[31:32], v[22:23], -v[14:15]
	s_mov_b32 s0, 0xe8584caa
	s_mov_b32 s1, 0xbfebb67a
	s_mov_b32 s3, 0x3febb67a
	s_wait_alu 0xfffe
	s_mov_b32 s2, s0
	v_add_f64_e32 v[33:34], v[4:5], v[16:17]
	v_add_f64_e32 v[35:36], v[6:7], v[18:19]
	;; [unrolled: 1-line block ×3, first 2 shown]
	v_add_f64_e64 v[41:42], v[18:19], -v[6:7]
	v_add_f64_e32 v[18:19], v[18:19], v[2:3]
	v_add_f64_e64 v[16:17], v[16:17], -v[4:5]
	v_fma_f64 v[25:26], v[25:26], -0.5, v[10:11]
	v_fma_f64 v[27:28], v[27:28], -0.5, v[8:9]
	v_add_f64_e32 v[8:9], v[20:21], v[8:9]
	v_add_f64_e32 v[10:11], v[22:23], v[10:11]
	v_fma_f64 v[0:1], v[33:34], -0.5, v[0:1]
	v_fma_f64 v[2:3], v[35:36], -0.5, v[2:3]
	v_add_f64_e32 v[4:5], v[4:5], v[39:40]
	v_add_f64_e32 v[6:7], v[6:7], v[18:19]
	s_wait_alu 0xfffe
	v_fma_f64 v[37:38], v[29:30], s[2:3], v[25:26]
	v_fma_f64 v[25:26], v[29:30], s[0:1], v[25:26]
	;; [unrolled: 1-line block ×4, first 2 shown]
	v_add_f64_e32 v[8:9], v[12:13], v[8:9]
	v_add_f64_e32 v[10:11], v[14:15], v[10:11]
	v_fma_f64 v[12:13], v[41:42], s[0:1], v[0:1]
	v_fma_f64 v[14:15], v[41:42], s[2:3], v[0:1]
	v_fma_f64 v[18:19], v[16:17], s[2:3], v[2:3]
	v_fma_f64 v[33:34], v[16:17], s[0:1], v[2:3]
	v_mul_f64_e32 v[22:23], s[0:1], v[37:38]
	v_mul_f64_e32 v[27:28], s[0:1], v[25:26]
	;; [unrolled: 1-line block ×3, first 2 shown]
	v_mul_f64_e32 v[25:26], -0.5, v[25:26]
	v_add_f64_e32 v[0:1], v[8:9], v[4:5]
	v_add_f64_e32 v[2:3], v[10:11], v[6:7]
	v_add_f64_e64 v[8:9], v[4:5], -v[8:9]
	v_add_f64_e64 v[10:11], v[6:7], -v[10:11]
	v_cmp_gt_u32_e64 s0, 6, v54
	v_fma_f64 v[16:17], v[29:30], 0.5, v[22:23]
	v_fma_f64 v[22:23], v[20:21], -0.5, v[27:28]
	v_fma_f64 v[27:28], v[37:38], 0.5, v[31:32]
	v_fma_f64 v[20:21], v[20:21], s[2:3], v[25:26]
	v_mul_hi_u32 v25, 0xb21642c9, v24
                                        ; implicit-def: $vgpr38_vgpr39
                                        ; implicit-def: $vgpr30_vgpr31
	v_add_f64_e32 v[40:41], v[12:13], v[16:17]
	v_add_f64_e32 v[4:5], v[14:15], v[22:23]
	;; [unrolled: 1-line block ×4, first 2 shown]
	v_add_f64_e64 v[12:13], v[12:13], -v[16:17]
	v_add_f64_e64 v[16:17], v[14:15], -v[22:23]
	;; [unrolled: 1-line block ×4, first 2 shown]
	v_lshrrev_b32_e32 v20, 4, v25
	v_mul_u32_u24_e32 v21, 6, v54
                                        ; implicit-def: $vgpr26_vgpr27
                                        ; implicit-def: $vgpr34_vgpr35
	s_delay_alu instid0(VALU_DEP_2) | instskip(NEXT) | instid1(VALU_DEP_1)
	v_mul_lo_u32 v20, v20, 23
	v_sub_nc_u32_e32 v22, v24, v20
	s_delay_alu instid0(VALU_DEP_3) | instskip(NEXT) | instid1(VALU_DEP_2)
	v_lshl_add_u32 v20, v21, 4, 0
	v_mul_u32_u24_e32 v21, 0x42, v22
	s_delay_alu instid0(VALU_DEP_1)
	v_lshl_add_u32 v22, v21, 4, v20
	ds_store_b128 v22, v[0:3]
	ds_store_b128 v22, v[40:43] offset:16
	ds_store_b128 v22, v[4:7] offset:32
	;; [unrolled: 1-line block ×5, first 2 shown]
	global_wb scope:SCOPE_SE
	s_wait_dscnt 0x0
	s_barrier_signal -1
	s_barrier_wait -1
	global_inv scope:SCOPE_SE
                                        ; implicit-def: $vgpr22_vgpr23
	s_and_saveexec_b32 s1, s0
	s_cbranch_execnz .LBB0_13
; %bb.11:
	s_wait_alu 0xfffe
	s_or_b32 exec_lo, exec_lo, s1
	s_and_b32 s0, vcc_lo, s0
	s_wait_alu 0xfffe
	s_and_saveexec_b32 s1, s0
	s_cbranch_execnz .LBB0_14
.LBB0_12:
	s_endpgm
.LBB0_13:
	v_lshlrev_b32_e32 v0, 4, v21
	v_lshlrev_b32_e32 v1, 4, v54
	v_mul_i32_i24_e32 v2, 0xffffffb0, v54
	s_delay_alu instid0(VALU_DEP_2) | instskip(NEXT) | instid1(VALU_DEP_2)
	v_add3_u32 v1, 0, v0, v1
	v_add3_u32 v36, v20, v2, v0
	ds_load_b128 v[0:3], v1
	ds_load_b128 v[40:43], v36 offset:96
	ds_load_b128 v[4:7], v36 offset:192
	;; [unrolled: 1-line block ×10, first 2 shown]
	s_wait_alu 0xfffe
	s_or_b32 exec_lo, exec_lo, s1
	s_and_b32 s0, vcc_lo, s0
	s_wait_alu 0xfffe
	s_and_saveexec_b32 s1, s0
	s_cbranch_execz .LBB0_12
.LBB0_14:
	v_mul_u32_u24_e32 v44, 10, v54
	s_mov_b32 s18, 0xfd768dbf
	s_mov_b32 s19, 0xbfd207e7
	;; [unrolled: 1-line block ×4, first 2 shown]
	v_lshlrev_b32_e32 v44, 4, v44
	s_mov_b32 s20, 0x8eee2c13
	s_mov_b32 s3, 0xbfefac9e
	;; [unrolled: 1-line block ×4, first 2 shown]
	s_clause 0x9
	global_load_b128 v[55:58], v44, s[4:5]
	global_load_b128 v[48:51], v44, s[4:5] offset:16
	global_load_b128 v[59:62], v44, s[4:5] offset:64
	;; [unrolled: 1-line block ×9, first 2 shown]
	s_mov_b32 s4, 0xbb3a28a1
	s_mov_b32 s5, 0xbfe82f19
	;; [unrolled: 1-line block ×10, first 2 shown]
	s_wait_alu 0xfffe
	s_mov_b32 s24, s2
	s_mov_b32 s26, s18
	;; [unrolled: 1-line block ×8, first 2 shown]
	s_wait_loadcnt_dscnt 0x909
	v_mul_f64_e32 v[87:88], v[40:41], v[57:58]
	v_mul_f64_e32 v[57:58], v[42:43], v[57:58]
	s_wait_loadcnt_dscnt 0x808
	v_mul_f64_e32 v[89:90], v[4:5], v[50:51]
	s_wait_loadcnt_dscnt 0x606
	v_mul_f64_e32 v[91:92], v[14:15], v[65:66]
	v_mul_f64_e32 v[65:66], v[12:13], v[65:66]
	v_mul_f64_e32 v[50:51], v[6:7], v[50:51]
	s_wait_loadcnt_dscnt 0x503
	v_mul_f64_e32 v[93:94], v[30:31], v[69:70]
	s_wait_loadcnt_dscnt 0x400
	v_mul_f64_e32 v[95:96], v[38:39], v[73:74]
	s_wait_loadcnt 0x1
	v_mul_f64_e32 v[101:102], v[34:35], v[85:86]
	v_mul_f64_e32 v[85:86], v[32:33], v[85:86]
	;; [unrolled: 1-line block ×8, first 2 shown]
	v_fma_f64 v[42:43], v[42:43], v[55:56], -v[87:88]
	v_mul_f64_e32 v[87:88], v[18:19], v[61:62]
	v_mul_f64_e32 v[61:62], v[16:17], v[61:62]
	v_fma_f64 v[40:41], v[40:41], v[55:56], v[57:58]
	s_wait_loadcnt 0x0
	v_mul_f64_e32 v[55:56], v[26:27], v[46:47]
	v_fma_f64 v[57:58], v[6:7], v[48:49], -v[89:90]
	v_mul_f64_e32 v[46:47], v[24:25], v[46:47]
	v_fma_f64 v[6:7], v[36:37], v[71:72], v[95:96]
	v_fma_f64 v[20:21], v[20:21], v[75:76], v[97:98]
	v_fma_f64 v[22:23], v[22:23], v[75:76], -v[77:78]
	v_add_f64_e32 v[89:90], v[2:3], v[42:43]
	v_fma_f64 v[87:88], v[16:17], v[59:60], v[87:88]
	v_fma_f64 v[59:60], v[18:19], v[59:60], -v[61:62]
	v_fma_f64 v[61:62], v[12:13], v[63:64], v[91:92]
	v_fma_f64 v[63:64], v[14:15], v[63:64], -v[65:66]
	;; [unrolled: 2-line block ×3, first 2 shown]
	v_fma_f64 v[32:33], v[4:5], v[48:49], v[50:51]
	v_add_f64_e32 v[34:35], v[0:1], v[40:41]
	v_fma_f64 v[16:17], v[28:29], v[67:68], v[93:94]
	v_fma_f64 v[28:29], v[8:9], v[79:80], v[99:100]
	v_fma_f64 v[8:9], v[38:39], v[71:72], -v[73:74]
	v_fma_f64 v[18:19], v[30:31], v[67:68], -v[69:70]
	;; [unrolled: 1-line block ×3, first 2 shown]
	v_fma_f64 v[4:5], v[24:25], v[44:45], v[55:56]
	v_fma_f64 v[10:11], v[26:27], v[44:45], -v[46:47]
	v_add_f64_e64 v[36:37], v[40:41], -v[6:7]
	v_add_f64_e32 v[40:41], v[40:41], v[6:7]
	v_add_f64_e32 v[24:25], v[57:58], v[89:90]
	v_add_f64_e64 v[44:45], v[87:88], -v[20:21]
	v_add_f64_e64 v[46:47], v[59:60], -v[22:23]
	v_add_f64_e32 v[69:70], v[59:60], v[22:23]
	v_add_f64_e32 v[34:35], v[32:33], v[34:35]
	v_add_f64_e64 v[26:27], v[61:62], -v[16:17]
	v_add_f64_e64 v[48:49], v[28:29], -v[12:13]
	;; [unrolled: 1-line block ×5, first 2 shown]
	v_add_f64_e32 v[75:76], v[28:29], v[12:13]
	v_add_f64_e64 v[65:66], v[32:33], -v[4:5]
	v_add_f64_e32 v[42:43], v[42:43], v[8:9]
	v_add_f64_e64 v[67:68], v[57:58], -v[10:11]
	v_mul_f64_e32 v[81:82], s[18:19], v[36:37]
	v_mul_f64_e32 v[89:90], s[4:5], v[36:37]
	;; [unrolled: 1-line block ×4, first 2 shown]
	v_add_f64_e32 v[73:74], v[30:31], v[14:15]
	v_add_f64_e32 v[57:58], v[57:58], v[10:11]
	;; [unrolled: 1-line block ×5, first 2 shown]
	v_mul_f64_e32 v[85:86], s[20:21], v[44:45]
	v_mul_f64_e32 v[91:92], s[20:21], v[46:47]
	v_add_f64_e32 v[30:31], v[32:33], v[4:5]
	v_add_f64_e32 v[32:33], v[87:88], v[20:21]
	v_mul_f64_e32 v[107:108], s[2:3], v[44:45]
	v_mul_f64_e32 v[109:110], s[4:5], v[44:45]
	;; [unrolled: 1-line block ×3, first 2 shown]
	v_add_f64_e32 v[28:29], v[28:29], v[34:35]
	v_mul_f64_e32 v[79:80], s[20:21], v[26:27]
	v_mul_f64_e32 v[95:96], s[20:21], v[48:49]
	;; [unrolled: 1-line block ×6, first 2 shown]
	s_mov_b32 s21, 0xbfed1bb4
	v_mul_f64_e32 v[103:104], s[2:3], v[55:56]
	v_mul_f64_e32 v[105:106], s[22:23], v[55:56]
	s_wait_alu 0xfffe
	v_mul_f64_e32 v[36:37], s[20:21], v[36:37]
	v_mul_f64_e32 v[55:56], s[20:21], v[55:56]
	;; [unrolled: 1-line block ×16, first 2 shown]
	v_fma_f64 v[151:152], v[42:43], s[6:7], v[81:82]
	v_fma_f64 v[153:154], v[42:43], s[0:1], v[93:94]
	v_fma_f64 v[93:94], v[42:43], s[0:1], -v[93:94]
	v_fma_f64 v[155:156], v[42:43], s[10:11], v[97:98]
	v_add_f64_e32 v[24:25], v[63:64], v[24:25]
	v_fma_f64 v[97:98], v[42:43], s[10:11], -v[97:98]
	v_mul_f64_e32 v[135:136], s[4:5], v[50:51]
	v_mul_f64_e32 v[137:138], s[22:23], v[50:51]
	;; [unrolled: 1-line block ×6, first 2 shown]
	v_add_f64_e32 v[28:29], v[61:62], v[28:29]
	v_fma_f64 v[61:62], v[42:43], s[6:7], -v[81:82]
	v_fma_f64 v[81:82], v[42:43], s[12:13], v[89:90]
	v_fma_f64 v[89:90], v[42:43], s[12:13], -v[89:90]
	v_fma_f64 v[157:158], v[40:41], s[6:7], -v[101:102]
	v_fma_f64 v[101:102], v[40:41], s[6:7], v[101:102]
	v_fma_f64 v[159:160], v[40:41], s[12:13], -v[34:35]
	v_fma_f64 v[34:35], v[40:41], s[12:13], v[34:35]
	;; [unrolled: 2-line block ×4, first 2 shown]
	v_fma_f64 v[179:180], v[42:43], s[14:15], v[36:37]
	v_fma_f64 v[36:37], v[42:43], s[14:15], -v[36:37]
	v_fma_f64 v[42:43], v[40:41], s[14:15], v[55:56]
	v_fma_f64 v[40:41], v[40:41], s[14:15], -v[55:56]
	;; [unrolled: 2-line block ×4, first 2 shown]
	v_fma_f64 v[169:170], v[73:74], s[14:15], v[95:96]
	v_fma_f64 v[171:172], v[73:74], s[0:1], v[48:49]
	v_fma_f64 v[48:49], v[73:74], s[0:1], -v[48:49]
	v_fma_f64 v[173:174], v[57:58], s[0:1], v[121:122]
	v_fma_f64 v[121:122], v[57:58], s[0:1], -v[121:122]
	;; [unrolled: 2-line block ×4, first 2 shown]
	v_fma_f64 v[125:126], v[30:31], s[10:11], v[127:128]
	v_add_f64_e32 v[24:25], v[59:60], v[24:25]
	v_fma_f64 v[59:60], v[73:74], s[14:15], -v[95:96]
	v_fma_f64 v[95:96], v[73:74], s[6:7], v[117:118]
	v_fma_f64 v[117:118], v[73:74], s[6:7], -v[117:118]
	v_fma_f64 v[73:74], v[57:58], s[10:11], v[119:120]
	v_fma_f64 v[119:120], v[57:58], s[10:11], -v[119:120]
	v_fma_f64 v[181:182], v[30:31], s[6:7], -v[131:132]
	v_fma_f64 v[131:132], v[30:31], s[6:7], v[131:132]
	v_add_f64_e32 v[28:29], v[87:88], v[28:29]
	v_fma_f64 v[87:88], v[30:31], s[10:11], -v[127:128]
	v_fma_f64 v[127:128], v[30:31], s[0:1], -v[129:130]
	v_fma_f64 v[129:130], v[30:31], s[0:1], v[129:130]
	v_fma_f64 v[183:184], v[30:31], s[12:13], -v[133:134]
	v_fma_f64 v[133:134], v[30:31], s[12:13], v[133:134]
	v_add_f64_e32 v[157:158], v[0:1], v[157:158]
	v_fma_f64 v[185:186], v[57:58], s[14:15], v[65:66]
	v_fma_f64 v[57:58], v[57:58], s[14:15], -v[65:66]
	v_fma_f64 v[65:66], v[30:31], s[14:15], -v[67:68]
	v_fma_f64 v[30:31], v[30:31], s[14:15], v[67:68]
	v_add_f64_e32 v[67:68], v[0:1], v[101:102]
	v_add_f64_e32 v[89:90], v[2:3], v[89:90]
	;; [unrolled: 1-line block ×20, first 2 shown]
	v_mul_f64_e32 v[143:144], s[24:25], v[26:27]
	v_mul_f64_e32 v[26:27], s[4:5], v[26:27]
	v_mul_f64_e32 v[145:146], s[18:19], v[38:39]
	v_mul_f64_e32 v[147:148], s[22:23], v[38:39]
	v_mul_f64_e32 v[149:150], s[24:25], v[38:39]
	v_mul_f64_e32 v[38:39], s[4:5], v[38:39]
	v_fma_f64 v[101:102], v[75:76], s[12:13], -v[135:136]
	v_add_f64_e32 v[20:21], v[20:21], v[28:29]
	v_fma_f64 v[135:136], v[75:76], s[12:13], v[135:136]
	v_fma_f64 v[24:25], v[75:76], s[10:11], -v[137:138]
	v_fma_f64 v[137:138], v[75:76], s[10:11], v[137:138]
	v_fma_f64 v[28:29], v[75:76], s[14:15], -v[99:100]
	v_fma_f64 v[42:43], v[75:76], s[14:15], v[99:100]
	v_add_f64_e32 v[87:88], v[87:88], v[157:158]
	v_fma_f64 v[99:100], v[75:76], s[6:7], -v[63:64]
	v_fma_f64 v[63:64], v[75:76], s[6:7], v[63:64]
	v_fma_f64 v[163:164], v[75:76], s[0:1], -v[50:51]
	v_fma_f64 v[50:51], v[75:76], s[0:1], v[50:51]
	v_add_f64_e32 v[67:68], v[125:126], v[67:68]
	v_add_f64_e32 v[89:90], v[121:122], v[89:90]
	v_add_f64_e32 v[34:35], v[129:130], v[34:35]
	v_add_f64_e32 v[61:62], v[119:120], v[61:62]
	v_add_f64_e32 v[73:74], v[73:74], v[151:152]
	v_add_f64_e32 v[81:82], v[173:174], v[81:82]
	v_add_f64_e32 v[127:128], v[127:128], v[159:160]
	v_add_f64_e32 v[129:130], v[181:182], v[161:162]
	v_add_f64_e32 v[93:94], v[123:124], v[93:94]
	v_add_f64_e32 v[103:104], v[131:132], v[103:104]
	v_add_f64_e32 v[121:122], v[175:176], v[153:154]
	v_add_f64_e32 v[123:124], v[185:186], v[155:156]
	v_add_f64_e32 v[57:58], v[57:58], v[97:98]
	v_add_f64_e32 v[30:31], v[30:31], v[105:106]
	v_mul_f64_e32 v[75:76], s[2:3], v[46:47]
	v_add_f64_e32 v[2:3], v[55:56], v[2:3]
	v_add_f64_e32 v[36:37], v[133:134], v[36:37]
	;; [unrolled: 1-line block ×6, first 2 shown]
	v_fma_f64 v[173:174], v[71:72], s[14:15], v[79:80]
	v_fma_f64 v[79:80], v[71:72], s[14:15], -v[79:80]
	v_fma_f64 v[159:160], v[71:72], s[6:7], v[111:112]
	v_fma_f64 v[111:112], v[71:72], s[6:7], -v[111:112]
	v_fma_f64 v[22:23], v[71:72], s[10:11], -v[141:142]
	v_fma_f64 v[65:66], v[71:72], s[0:1], v[143:144]
	v_add_f64_e32 v[16:17], v[16:17], v[20:21]
	v_fma_f64 v[20:21], v[71:72], s[10:11], v[141:142]
	v_fma_f64 v[97:98], v[71:72], s[0:1], -v[143:144]
	v_fma_f64 v[105:106], v[71:72], s[12:13], v[26:27]
	v_fma_f64 v[26:27], v[71:72], s[12:13], -v[26:27]
	v_fma_f64 v[71:72], v[77:78], s[14:15], -v[83:84]
	v_fma_f64 v[83:84], v[77:78], s[14:15], v[83:84]
	v_fma_f64 v[131:132], v[77:78], s[6:7], -v[145:146]
	v_fma_f64 v[133:134], v[77:78], s[6:7], v[145:146]
	;; [unrolled: 2-line block ×5, first 2 shown]
	v_add_f64_e32 v[77:78], v[101:102], v[87:88]
	v_add_f64_e32 v[67:68], v[135:136], v[67:68]
	;; [unrolled: 1-line block ×5, first 2 shown]
	v_mul_f64_e32 v[44:45], s[18:19], v[44:45]
	v_mul_f64_e32 v[151:152], s[4:5], v[46:47]
	;; [unrolled: 1-line block ×4, first 2 shown]
	v_add_f64_e32 v[73:74], v[165:166], v[73:74]
	v_add_f64_e32 v[81:82], v[167:168], v[81:82]
	;; [unrolled: 1-line block ×17, first 2 shown]
	v_fma_f64 v[125:126], v[69:70], s[14:15], v[85:86]
	v_fma_f64 v[85:86], v[69:70], s[14:15], -v[85:86]
	v_fma_f64 v[16:17], v[32:33], s[0:1], -v[75:76]
	v_fma_f64 v[18:19], v[32:33], s[0:1], v[75:76]
	v_fma_f64 v[75:76], v[32:33], s[14:15], v[91:92]
	;; [unrolled: 1-line block ×3, first 2 shown]
	v_fma_f64 v[107:108], v[69:70], s[0:1], -v[107:108]
	v_fma_f64 v[55:56], v[69:70], s[12:13], v[109:110]
	v_fma_f64 v[57:58], v[69:70], s[12:13], -v[109:110]
	v_fma_f64 v[63:64], v[69:70], s[10:11], v[139:140]
	v_fma_f64 v[95:96], v[69:70], s[10:11], -v[139:140]
	v_add_f64_e32 v[71:72], v[71:72], v[77:78]
	v_add_f64_e32 v[67:68], v[83:84], v[67:68]
	;; [unrolled: 1-line block ×5, first 2 shown]
	v_fma_f64 v[99:100], v[69:70], s[6:7], v[44:45]
	v_fma_f64 v[44:45], v[69:70], s[6:7], -v[44:45]
	v_fma_f64 v[69:70], v[32:33], s[14:15], -v[91:92]
	v_fma_f64 v[91:92], v[32:33], s[12:13], -v[151:152]
	v_fma_f64 v[101:102], v[32:33], s[12:13], v[151:152]
	v_fma_f64 v[103:104], v[32:33], s[10:11], -v[157:158]
	v_fma_f64 v[109:110], v[32:33], s[10:11], v[157:158]
	v_fma_f64 v[113:114], v[32:33], s[6:7], -v[46:47]
	v_fma_f64 v[46:47], v[32:33], s[6:7], v[46:47]
	v_add_f64_e32 v[32:33], v[173:174], v[73:74]
	v_add_f64_e32 v[73:74], v[159:160], v[81:82]
	;; [unrolled: 1-line block ×32, first 2 shown]
	v_mov_b32_e32 v55, 0
	v_add_f64_e32 v[36:37], v[44:45], v[48:49]
	v_add_f64_e32 v[44:45], v[63:64], v[50:51]
	;; [unrolled: 1-line block ×7, first 2 shown]
	v_lshlrev_b64_e32 v[4:5], 4, v[54:55]
	v_add_co_u32 v46, vcc_lo, s8, v52
	s_wait_alu 0xfffd
	v_add_co_ci_u32_e32 v47, vcc_lo, s9, v53, vcc_lo
	s_delay_alu instid0(VALU_DEP_2) | instskip(SKIP_1) | instid1(VALU_DEP_2)
	v_add_co_u32 v4, vcc_lo, v46, v4
	s_wait_alu 0xfffd
	v_add_co_ci_u32_e32 v5, vcc_lo, v47, v5, vcc_lo
	s_clause 0xa
	global_store_b128 v[4:5], v[18:21], off offset:384
	global_store_b128 v[4:5], v[10:13], off offset:480
	;; [unrolled: 1-line block ×9, first 2 shown]
	global_store_b128 v[4:5], v[6:9], off
	global_store_b128 v[4:5], v[30:33], off offset:960
	s_nop 0
	s_sendmsg sendmsg(MSG_DEALLOC_VGPRS)
	s_endpgm
	.section	.rodata,"a",@progbits
	.p2align	6, 0x0
	.amdhsa_kernel fft_rtc_back_len66_factors_6_11_wgs_253_tpt_11_dp_ip_CI_unitstride_sbrr_dirReg
		.amdhsa_group_segment_fixed_size 0
		.amdhsa_private_segment_fixed_size 0
		.amdhsa_kernarg_size 88
		.amdhsa_user_sgpr_count 2
		.amdhsa_user_sgpr_dispatch_ptr 0
		.amdhsa_user_sgpr_queue_ptr 0
		.amdhsa_user_sgpr_kernarg_segment_ptr 1
		.amdhsa_user_sgpr_dispatch_id 0
		.amdhsa_user_sgpr_private_segment_size 0
		.amdhsa_wavefront_size32 1
		.amdhsa_uses_dynamic_stack 0
		.amdhsa_enable_private_segment 0
		.amdhsa_system_sgpr_workgroup_id_x 1
		.amdhsa_system_sgpr_workgroup_id_y 0
		.amdhsa_system_sgpr_workgroup_id_z 0
		.amdhsa_system_sgpr_workgroup_info 0
		.amdhsa_system_vgpr_workitem_id 0
		.amdhsa_next_free_vgpr 187
		.amdhsa_next_free_sgpr 32
		.amdhsa_reserve_vcc 1
		.amdhsa_float_round_mode_32 0
		.amdhsa_float_round_mode_16_64 0
		.amdhsa_float_denorm_mode_32 3
		.amdhsa_float_denorm_mode_16_64 3
		.amdhsa_fp16_overflow 0
		.amdhsa_workgroup_processor_mode 1
		.amdhsa_memory_ordered 1
		.amdhsa_forward_progress 0
		.amdhsa_round_robin_scheduling 0
		.amdhsa_exception_fp_ieee_invalid_op 0
		.amdhsa_exception_fp_denorm_src 0
		.amdhsa_exception_fp_ieee_div_zero 0
		.amdhsa_exception_fp_ieee_overflow 0
		.amdhsa_exception_fp_ieee_underflow 0
		.amdhsa_exception_fp_ieee_inexact 0
		.amdhsa_exception_int_div_zero 0
	.end_amdhsa_kernel
	.text
.Lfunc_end0:
	.size	fft_rtc_back_len66_factors_6_11_wgs_253_tpt_11_dp_ip_CI_unitstride_sbrr_dirReg, .Lfunc_end0-fft_rtc_back_len66_factors_6_11_wgs_253_tpt_11_dp_ip_CI_unitstride_sbrr_dirReg
                                        ; -- End function
	.section	.AMDGPU.csdata,"",@progbits
; Kernel info:
; codeLenInByte = 4508
; NumSgprs: 34
; NumVgprs: 187
; ScratchSize: 0
; MemoryBound: 1
; FloatMode: 240
; IeeeMode: 1
; LDSByteSize: 0 bytes/workgroup (compile time only)
; SGPRBlocks: 4
; VGPRBlocks: 23
; NumSGPRsForWavesPerEU: 34
; NumVGPRsForWavesPerEU: 187
; Occupancy: 8
; WaveLimiterHint : 1
; COMPUTE_PGM_RSRC2:SCRATCH_EN: 0
; COMPUTE_PGM_RSRC2:USER_SGPR: 2
; COMPUTE_PGM_RSRC2:TRAP_HANDLER: 0
; COMPUTE_PGM_RSRC2:TGID_X_EN: 1
; COMPUTE_PGM_RSRC2:TGID_Y_EN: 0
; COMPUTE_PGM_RSRC2:TGID_Z_EN: 0
; COMPUTE_PGM_RSRC2:TIDIG_COMP_CNT: 0
	.text
	.p2alignl 7, 3214868480
	.fill 96, 4, 3214868480
	.type	__hip_cuid_c57b1f4022c958ce,@object ; @__hip_cuid_c57b1f4022c958ce
	.section	.bss,"aw",@nobits
	.globl	__hip_cuid_c57b1f4022c958ce
__hip_cuid_c57b1f4022c958ce:
	.byte	0                               ; 0x0
	.size	__hip_cuid_c57b1f4022c958ce, 1

	.ident	"AMD clang version 19.0.0git (https://github.com/RadeonOpenCompute/llvm-project roc-6.4.0 25133 c7fe45cf4b819c5991fe208aaa96edf142730f1d)"
	.section	".note.GNU-stack","",@progbits
	.addrsig
	.addrsig_sym __hip_cuid_c57b1f4022c958ce
	.amdgpu_metadata
---
amdhsa.kernels:
  - .args:
      - .actual_access:  read_only
        .address_space:  global
        .offset:         0
        .size:           8
        .value_kind:     global_buffer
      - .offset:         8
        .size:           8
        .value_kind:     by_value
      - .actual_access:  read_only
        .address_space:  global
        .offset:         16
        .size:           8
        .value_kind:     global_buffer
      - .actual_access:  read_only
        .address_space:  global
        .offset:         24
        .size:           8
        .value_kind:     global_buffer
      - .offset:         32
        .size:           8
        .value_kind:     by_value
      - .actual_access:  read_only
        .address_space:  global
        .offset:         40
        .size:           8
        .value_kind:     global_buffer
      - .actual_access:  read_only
        .address_space:  global
        .offset:         48
        .size:           8
        .value_kind:     global_buffer
      - .offset:         56
        .size:           4
        .value_kind:     by_value
      - .actual_access:  read_only
        .address_space:  global
        .offset:         64
        .size:           8
        .value_kind:     global_buffer
      - .actual_access:  read_only
        .address_space:  global
        .offset:         72
        .size:           8
        .value_kind:     global_buffer
      - .address_space:  global
        .offset:         80
        .size:           8
        .value_kind:     global_buffer
    .group_segment_fixed_size: 0
    .kernarg_segment_align: 8
    .kernarg_segment_size: 88
    .language:       OpenCL C
    .language_version:
      - 2
      - 0
    .max_flat_workgroup_size: 253
    .name:           fft_rtc_back_len66_factors_6_11_wgs_253_tpt_11_dp_ip_CI_unitstride_sbrr_dirReg
    .private_segment_fixed_size: 0
    .sgpr_count:     34
    .sgpr_spill_count: 0
    .symbol:         fft_rtc_back_len66_factors_6_11_wgs_253_tpt_11_dp_ip_CI_unitstride_sbrr_dirReg.kd
    .uniform_work_group_size: 1
    .uses_dynamic_stack: false
    .vgpr_count:     187
    .vgpr_spill_count: 0
    .wavefront_size: 32
    .workgroup_processor_mode: 1
amdhsa.target:   amdgcn-amd-amdhsa--gfx1201
amdhsa.version:
  - 1
  - 2
...

	.end_amdgpu_metadata
